;; amdgpu-corpus repo=zjin-lcf/HeCBench kind=compiled arch=gfx90a opt=O3
	.text
	.amdgcn_target "amdgcn-amd-amdhsa--gfx90a"
	.amdhsa_code_object_version 6
	.section	.text._Z20fused_dropout_kernelIffjhEvPKT_PS0_PT2_T1_T0_St4pairImmE,"axG",@progbits,_Z20fused_dropout_kernelIffjhEvPKT_PS0_PT2_T1_T0_St4pairImmE,comdat
	.protected	_Z20fused_dropout_kernelIffjhEvPKT_PS0_PT2_T1_T0_St4pairImmE ; -- Begin function _Z20fused_dropout_kernelIffjhEvPKT_PS0_PT2_T1_T0_St4pairImmE
	.globl	_Z20fused_dropout_kernelIffjhEvPKT_PS0_PT2_T1_T0_St4pairImmE
	.p2align	8
	.type	_Z20fused_dropout_kernelIffjhEvPKT_PS0_PT2_T1_T0_St4pairImmE,@function
_Z20fused_dropout_kernelIffjhEvPKT_PS0_PT2_T1_T0_St4pairImmE: ; @_Z20fused_dropout_kernelIffjhEvPKT_PS0_PT2_T1_T0_St4pairImmE
; %bb.0:
	s_load_dword s0, s[4:5], 0x3c
	s_load_dword s1, s[4:5], 0x30
	s_load_dwordx2 s[16:17], s[4:5], 0x18
	s_waitcnt lgkmcnt(0)
	s_and_b32 s0, s0, 0xffff
	s_mul_i32 s2, s1, s0
	s_lshl_b32 s22, s2, 2
	v_cvt_f32_u32_e32 v1, s22
	s_sub_i32 s3, 0, s22
	s_add_i32 s2, s16, -1
	s_mul_i32 s23, s6, s0
	v_rcp_iflag_f32_e32 v1, v1
	v_mul_f32_e32 v1, 0x4f7ffffe, v1
	v_cvt_u32_f32_e32 v2, v1
	v_add_u32_e32 v1, s23, v0
	v_readfirstlane_b32 s7, v2
	s_mul_i32 s3, s3, s7
	s_mul_hi_u32 s3, s7, s3
	s_add_i32 s7, s7, s3
	s_mul_hi_u32 s3, s2, s7
	s_mul_i32 s7, s3, s22
	s_sub_i32 s2, s2, s7
	s_add_i32 s8, s3, 1
	s_sub_i32 s7, s2, s22
	s_cmp_ge_u32 s2, s22
	s_cselect_b32 s3, s8, s3
	s_cselect_b32 s2, s7, s2
	s_add_i32 s7, s3, 1
	s_cmp_ge_u32 s2, s22
	s_cselect_b32 s2, s7, s3
	s_add_i32 s2, s2, 1
	s_mul_i32 s24, s22, s2
	v_cmp_gt_u32_e32 vcc, s24, v1
	s_and_saveexec_b64 s[2:3], vcc
	s_cbranch_execz .LBB0_29
; %bb.1:
	v_div_scale_f32 v2, s[2:3], s17, s17, 1.0
	v_rcp_f32_e32 v3, v2
	s_load_dwordx4 s[8:11], s[4:5], 0x0
	s_load_dwordx2 s[18:19], s[4:5], 0x10
	s_load_dwordx4 s[12:15], s[4:5], 0x20
	s_mov_b32 s37, 0xcd9e8d57
	s_mov_b32 s36, 0xd2511f53
	v_fma_f32 v4, -v2, v3, 1.0
	v_fmac_f32_e32 v3, v4, v3
	v_div_scale_f32 v4, vcc, 1.0, s17, 1.0
	v_mul_f32_e32 v5, v4, v3
	v_fma_f32 v6, -v2, v5, v4
	v_fmac_f32_e32 v5, v6, v3
	v_fma_f32 v2, -v2, v5, v4
	v_div_fmas_f32 v2, v2, v3, v5
	v_div_fixup_f32 v26, v2, s17, 1.0
	s_waitcnt lgkmcnt(0)
	v_mov_b32_e32 v2, s14
	v_alignbit_b32 v10, s15, v2, 2
	v_readfirstlane_b32 s2, v10
	s_mul_hi_u32 s3, s2, 0xd2511f53
	s_xor_b64 s[2:3], s[2:3], s[12:13]
	s_mul_hi_u32 s2, s3, 0xcd9e8d57
	s_add_u32 s38, s12, 0x9e3779b9
	s_mul_i32 s4, s3, 0xcd9e8d57
	s_xor_b32 s5, s2, s38
	v_mad_u64_u32 v[2:3], s[2:3], v1, s37, 0
	v_xor_b32_e32 v2, s5, v2
	v_mad_u64_u32 v[4:5], s[2:3], v2, s36, 0
	s_lshr_b32 s39, s15, 2
	s_xor_b32 s2, s39, s12
	s_add_u32 s35, s13, 0x76cf5d0a
	v_xor_b32_e32 v2, s2, v3
	v_xor_b32_e32 v5, s35, v5
	v_mad_u64_u32 v[2:3], s[2:3], v2, s36, 0
	v_mul_lo_u32 v8, v10, s36
	v_xor_b32_e32 v2, v5, v2
	s_add_u32 s40, s13, 0xbb67ae85
	v_mad_u64_u32 v[6:7], s[2:3], v2, s37, 0
	v_xor_b32_e32 v2, s40, v8
	s_add_u32 s34, s12, 0xdaa66d2b
	v_xor_b32_e32 v2, v2, v3
	v_xor_b32_e32 v5, s34, v7
	v_mad_u64_u32 v[2:3], s[2:3], v2, s37, 0
	v_xor_b32_e32 v2, v5, v2
	v_mad_u64_u32 v[8:9], s[2:3], v2, s36, 0
	s_add_u32 s41, s12, 0x3c6ef372
	s_xor_b32 s2, s4, s41
	s_add_u32 s33, s13, 0xed9eba14
	v_xor_b32_e32 v2, s2, v3
	v_xor_b32_e32 v5, s33, v9
	v_mad_u64_u32 v[2:3], s[2:3], v2, s36, 0
	v_xor_b32_e32 v2, v5, v2
	s_add_u32 s42, s13, 0x32370b8f
	v_mad_u64_u32 v[12:13], s[2:3], v2, s37, 0
	v_xor_b32_e32 v2, s42, v3
	s_add_u32 s31, s12, 0x1715609d
	v_xor_b32_e32 v2, v2, v4
	v_xor_b32_e32 v5, s31, v13
	v_mad_u64_u32 v[2:3], s[2:3], v2, s37, 0
	v_xor_b32_e32 v2, v5, v2
	s_add_u32 s43, s12, 0x78dde6e4
	v_mad_u64_u32 v[4:5], s[2:3], v2, s36, 0
	v_xor_b32_e32 v2, s43, v3
	;; [unrolled: 8-line block ×5, first 2 shown]
	v_xor_b32_e32 v2, v2, v4
	v_mad_u64_u32 v[2:3], s[2:3], v2, s37, 0
	s_add_i32 s26, s12, 0x8ff34781
	v_xor_b32_e32 v2, v13, v2
	s_add_u32 s47, s12, 0xf1bbcdc8
	v_xor_b32_e32 v14, s26, v2
	v_xor_b32_e32 v2, s47, v3
	;; [unrolled: 1-line block ×3, first 2 shown]
	v_mad_u64_u32 v[2:3], s[2:3], v2, s36, 0
	s_lshl_b32 s2, s1, 1
	s_add_i32 s48, s6, s2
	s_mul_i32 s2, s1, 3
	s_add_i32 s27, s13, 0x96a522ad
	v_xor_b32_e32 v3, v3, v8
	s_add_i32 s49, s6, s2
	s_add_i32 s50, s6, s1
	s_and_b32 s25, s14, 3
	v_xor_b32_e32 v16, s27, v3
	v_mov_b32_e32 v15, v12
	v_mov_b32_e32 v17, v2
	s_mul_i32 s48, s48, s0
	s_mul_i32 s49, s49, s0
	;; [unrolled: 1-line block ×3, first 2 shown]
	s_mov_b64 s[14:15], 0
	v_mov_b32_e32 v27, 0
	v_mov_b32_e32 v23, 0
                                        ; implicit-def: $vgpr2_vgpr3_vgpr4_vgpr5
	s_branch .LBB0_3
.LBB0_2:                                ;   in Loop: Header=BB0_3 Depth=1
	s_or_b64 exec, exec, s[2:3]
	v_add_u32_e32 v0, s22, v0
	v_mov_b32_e32 v9, v24
	v_add_u32_e32 v10, s23, v0
	v_cmp_le_u32_e32 vcc, s24, v10
	v_pk_mov_b32 v[16:17], v[8:9], v[8:9] op_sel:[0,1]
	s_or_b64 s[14:15], vcc, s[14:15]
	v_mov_b32_e32 v10, s51
	v_pk_mov_b32 v[14:15], v[6:7], v[6:7] op_sel:[0,1]
	s_barrier
	s_andn2_b64 exec, exec, s[14:15]
	s_cbranch_execz .LBB0_29
.LBB0_3:                                ; =>This Inner Loop Header: Depth=1
	v_add_co_u32_e32 v6, vcc, 1, v10
	s_cmp_lg_u64 vcc, 0
	s_addc_u32 s39, s39, 0
	s_cmp_eq_u32 s39, 0
	v_cndmask_b32_e64 v7, 0, 1, vcc
	s_cselect_b64 vcc, -1, 0
	v_readfirstlane_b32 s51, v6
	v_cndmask_b32_e32 v6, 0, v7, vcc
	v_add_u32_e32 v1, v6, v1
	v_cmp_eq_u32_e32 vcc, 0, v1
	v_cndmask_b32_e32 v6, 0, v6, vcc
	v_add_u32_e32 v27, v6, v27
	v_mad_u64_u32 v[6:7], s[2:3], v1, s37, 0
	s_mul_hi_u32 s1, s51, 0xd2511f53
	s_mul_i32 s0, s51, 0xd2511f53
	s_xor_b32 s2, s39, s12
	v_xor_b32_e32 v7, s2, v7
	s_xor_b64 s[2:3], s[0:1], s[12:13]
	v_xor_b32_e32 v10, s3, v27
	v_mad_u64_u32 v[10:11], s[2:3], v10, s37, 0
	v_mad_u64_u32 v[8:9], s[2:3], v7, s36, 0
	v_xor_b32_e32 v7, s38, v11
	s_xor_b32 s0, s0, s40
	v_xor_b32_e32 v6, v7, v6
	v_xor_b32_e32 v9, s0, v9
	v_mad_u64_u32 v[6:7], s[0:1], v6, s36, 0
	v_mad_u64_u32 v[12:13], s[0:1], v9, s37, 0
	v_xor_b32_e32 v9, s41, v13
	v_xor_b32_e32 v7, s35, v7
	v_xor_b32_e32 v9, v9, v10
	v_xor_b32_e32 v7, v7, v8
	v_mad_u64_u32 v[8:9], s[0:1], v9, s36, 0
	v_mad_u64_u32 v[10:11], s[0:1], v7, s37, 0
	v_xor_b32_e32 v7, s34, v11
	v_xor_b32_e32 v9, s42, v9
	;; [unrolled: 6-line block ×8, first 2 shown]
	v_xor_b32_e32 v21, s27, v7
	v_xor_b32_e32 v6, s26, v6
	v_mov_b32_e32 v7, v20
	s_cmp_lt_i32 s25, 2
	v_mov_b32_e32 v8, v21
	s_cbranch_scc1 .LBB0_6
; %bb.4:                                ;   in Loop: Header=BB0_3 Depth=1
	s_cmp_gt_i32 s25, 2
	s_cbranch_scc0 .LBB0_7
; %bb.5:                                ;   in Loop: Header=BB0_3 Depth=1
	v_mov_b32_e32 v18, v17
	v_mov_b32_e32 v19, v6
	v_pk_mov_b32 v[10:11], v[18:19], v[18:19] op_sel:[0,1]
	v_pk_mov_b32 v[12:13], v[20:21], v[20:21] op_sel:[0,1]
	s_cbranch_execz .LBB0_8
	s_branch .LBB0_9
.LBB0_6:                                ;   in Loop: Header=BB0_3 Depth=1
                                        ; implicit-def: $vgpr10_vgpr11_vgpr12_vgpr13
	s_branch .LBB0_10
.LBB0_7:                                ;   in Loop: Header=BB0_3 Depth=1
                                        ; implicit-def: $vgpr10_vgpr11_vgpr12_vgpr13
.LBB0_8:                                ;   in Loop: Header=BB0_3 Depth=1
	v_mov_b32_e32 v10, v16
	v_mov_b32_e32 v11, v17
	;; [unrolled: 1-line block ×4, first 2 shown]
.LBB0_9:                                ;   in Loop: Header=BB0_3 Depth=1
	s_cbranch_execnz .LBB0_13
.LBB0_10:                               ;   in Loop: Header=BB0_3 Depth=1
	s_cmp_lg_u32 s25, 1
	s_cbranch_scc1 .LBB0_12
; %bb.11:                               ;   in Loop: Header=BB0_3 Depth=1
	v_mov_b32_e32 v14, v15
	v_mov_b32_e32 v15, v16
	;; [unrolled: 1-line block ×4, first 2 shown]
.LBB0_12:                               ;   in Loop: Header=BB0_3 Depth=1
	v_pk_mov_b32 v[10:11], v[14:15], v[14:15] op_sel:[0,1]
	v_pk_mov_b32 v[12:13], v[16:17], v[16:17] op_sel:[0,1]
.LBB0_13:                               ;   in Loop: Header=BB0_3 Depth=1
	v_add_u32_e32 v22, s23, v0
	v_cmp_gt_u32_e64 s[4:5], s16, v22
	s_and_saveexec_b64 s[0:1], s[4:5]
	s_cbranch_execz .LBB0_15
; %bb.14:                               ;   in Loop: Header=BB0_3 Depth=1
	v_lshlrev_b64 v[14:15], 2, v[22:23]
	s_waitcnt vmcnt(0)
	v_mov_b32_e32 v2, s9
	v_add_co_u32_e32 v14, vcc, s8, v14
	v_addc_co_u32_e32 v15, vcc, v2, v15, vcc
	global_load_dword v2, v[14:15], off
.LBB0_15:                               ;   in Loop: Header=BB0_3 Depth=1
	s_or_b64 exec, exec, s[0:1]
	v_add_u32_e32 v18, s50, v0
	v_cmp_gt_u32_e64 s[2:3], s16, v18
	s_and_saveexec_b64 s[0:1], s[2:3]
	s_cbranch_execz .LBB0_17
; %bb.16:                               ;   in Loop: Header=BB0_3 Depth=1
	v_mov_b32_e32 v19, v23
	v_lshlrev_b64 v[14:15], 2, v[18:19]
	s_waitcnt vmcnt(0)
	v_mov_b32_e32 v3, s9
	v_add_co_u32_e32 v14, vcc, s8, v14
	v_addc_co_u32_e32 v15, vcc, v3, v15, vcc
	global_load_dword v3, v[14:15], off
.LBB0_17:                               ;   in Loop: Header=BB0_3 Depth=1
	s_or_b64 exec, exec, s[0:1]
	v_add_u32_e32 v16, s48, v0
	v_cmp_gt_u32_e64 s[0:1], s16, v16
	s_and_saveexec_b64 s[6:7], s[0:1]
	s_cbranch_execz .LBB0_19
; %bb.18:                               ;   in Loop: Header=BB0_3 Depth=1
	v_mov_b32_e32 v17, v23
	v_lshlrev_b64 v[14:15], 2, v[16:17]
	s_waitcnt vmcnt(0)
	v_mov_b32_e32 v4, s9
	v_add_co_u32_e32 v14, vcc, s8, v14
	v_addc_co_u32_e32 v15, vcc, v4, v15, vcc
	global_load_dword v4, v[14:15], off
.LBB0_19:                               ;   in Loop: Header=BB0_3 Depth=1
	s_or_b64 exec, exec, s[6:7]
	v_add_u32_e32 v14, s49, v0
	v_cmp_gt_u32_e32 vcc, s16, v14
	s_and_saveexec_b64 s[20:21], vcc
	s_cbranch_execnz .LBB0_24
; %bb.20:                               ;   in Loop: Header=BB0_3 Depth=1
	s_or_b64 exec, exec, s[20:21]
	s_and_saveexec_b64 s[20:21], s[4:5]
	s_cbranch_execnz .LBB0_25
.LBB0_21:                               ;   in Loop: Header=BB0_3 Depth=1
	s_or_b64 exec, exec, s[20:21]
	s_and_saveexec_b64 s[6:7], s[2:3]
	s_cbranch_execnz .LBB0_26
.LBB0_22:                               ;   in Loop: Header=BB0_3 Depth=1
	s_or_b64 exec, exec, s[6:7]
	s_and_saveexec_b64 s[4:5], s[0:1]
	s_cbranch_execnz .LBB0_27
.LBB0_23:                               ;   in Loop: Header=BB0_3 Depth=1
	s_or_b64 exec, exec, s[4:5]
	s_and_saveexec_b64 s[2:3], vcc
	s_cbranch_execz .LBB0_2
	s_branch .LBB0_28
.LBB0_24:                               ;   in Loop: Header=BB0_3 Depth=1
	v_mov_b32_e32 v15, v23
	v_lshlrev_b64 v[20:21], 2, v[14:15]
	s_waitcnt vmcnt(0)
	v_mov_b32_e32 v5, s9
	v_add_co_u32_e64 v20, s[6:7], s8, v20
	v_addc_co_u32_e64 v21, s[6:7], v5, v21, s[6:7]
	global_load_dword v5, v[20:21], off
	s_or_b64 exec, exec, s[20:21]
	s_and_saveexec_b64 s[20:21], s[4:5]
	s_cbranch_execz .LBB0_21
.LBB0_25:                               ;   in Loop: Header=BB0_3 Depth=1
	v_cvt_f32_u32_e32 v9, v10
	v_mov_b32_e32 v10, 0x2f800000
	v_lshlrev_b64 v[20:21], 2, v[22:23]
	v_add_co_u32_e64 v20, s[6:7], s10, v20
	v_fmac_f32_e32 v10, 0x2f800000, v9
	v_cmp_gt_f32_e64 s[4:5], s17, v10
	v_cndmask_b32_e64 v9, 0, 1.0, s[4:5]
	s_waitcnt vmcnt(0)
	v_mul_f32_e32 v9, v2, v9
	v_mov_b32_e32 v10, s11
	v_mul_f32_e32 v9, v26, v9
	v_addc_co_u32_e64 v21, s[6:7], v10, v21, s[6:7]
	global_store_dword v[20:21], v9, off
	v_cndmask_b32_e64 v9, 0, 1, s[4:5]
	global_store_byte v22, v9, s[18:19]
	s_or_b64 exec, exec, s[20:21]
	s_and_saveexec_b64 s[6:7], s[2:3]
	s_cbranch_execz .LBB0_22
.LBB0_26:                               ;   in Loop: Header=BB0_3 Depth=1
	v_cvt_f32_u32_e32 v9, v11
	v_mov_b32_e32 v10, 0x2f800000
	v_mov_b32_e32 v19, v23
	;; [unrolled: 1-line block ×3, first 2 shown]
	v_fmac_f32_e32 v10, 0x2f800000, v9
	v_cmp_gt_f32_e64 s[2:3], s17, v10
	v_cndmask_b32_e64 v9, 0, 1.0, s[2:3]
	v_lshlrev_b64 v[10:11], 2, v[18:19]
	s_waitcnt vmcnt(0)
	v_mul_f32_e32 v9, v3, v9
	v_add_co_u32_e64 v10, s[4:5], s10, v10
	v_mul_f32_e32 v9, v26, v9
	v_addc_co_u32_e64 v11, s[4:5], v15, v11, s[4:5]
	global_store_dword v[10:11], v9, off
	v_cndmask_b32_e64 v9, 0, 1, s[2:3]
	global_store_byte v18, v9, s[18:19]
	s_or_b64 exec, exec, s[6:7]
	s_and_saveexec_b64 s[4:5], s[0:1]
	s_cbranch_execz .LBB0_23
.LBB0_27:                               ;   in Loop: Header=BB0_3 Depth=1
	v_cvt_f32_u32_e32 v9, v12
	v_mov_b32_e32 v10, 0x2f800000
	v_mov_b32_e32 v17, v23
	;; [unrolled: 1-line block ×3, first 2 shown]
	v_fmac_f32_e32 v10, 0x2f800000, v9
	v_cmp_gt_f32_e64 s[0:1], s17, v10
	v_cndmask_b32_e64 v9, 0, 1.0, s[0:1]
	v_lshlrev_b64 v[10:11], 2, v[16:17]
	s_waitcnt vmcnt(0)
	v_mul_f32_e32 v9, v4, v9
	v_add_co_u32_e64 v10, s[2:3], s10, v10
	v_mul_f32_e32 v9, v26, v9
	v_addc_co_u32_e64 v11, s[2:3], v12, v11, s[2:3]
	global_store_dword v[10:11], v9, off
	v_cndmask_b32_e64 v9, 0, 1, s[0:1]
	global_store_byte v16, v9, s[18:19]
	s_or_b64 exec, exec, s[4:5]
	s_and_saveexec_b64 s[2:3], vcc
	s_cbranch_execz .LBB0_2
.LBB0_28:                               ;   in Loop: Header=BB0_3 Depth=1
	v_cvt_f32_u32_e32 v9, v13
	v_mov_b32_e32 v10, 0x2f800000
	v_mov_b32_e32 v15, v23
	;; [unrolled: 1-line block ×3, first 2 shown]
	v_fmac_f32_e32 v10, 0x2f800000, v9
	v_cmp_gt_f32_e32 vcc, s17, v10
	v_cndmask_b32_e64 v9, 0, 1.0, vcc
	v_lshlrev_b64 v[10:11], 2, v[14:15]
	s_waitcnt vmcnt(0)
	v_mul_f32_e32 v9, v5, v9
	v_add_co_u32_e64 v10, s[0:1], s10, v10
	v_mul_f32_e32 v9, v26, v9
	v_addc_co_u32_e64 v11, s[0:1], v12, v11, s[0:1]
	global_store_dword v[10:11], v9, off
	v_cndmask_b32_e64 v9, 0, 1, vcc
	global_store_byte v14, v9, s[18:19]
	s_branch .LBB0_2
.LBB0_29:
	s_endpgm
	.section	.rodata,"a",@progbits
	.p2align	6, 0x0
	.amdhsa_kernel _Z20fused_dropout_kernelIffjhEvPKT_PS0_PT2_T1_T0_St4pairImmE
		.amdhsa_group_segment_fixed_size 0
		.amdhsa_private_segment_fixed_size 0
		.amdhsa_kernarg_size 304
		.amdhsa_user_sgpr_count 6
		.amdhsa_user_sgpr_private_segment_buffer 1
		.amdhsa_user_sgpr_dispatch_ptr 0
		.amdhsa_user_sgpr_queue_ptr 0
		.amdhsa_user_sgpr_kernarg_segment_ptr 1
		.amdhsa_user_sgpr_dispatch_id 0
		.amdhsa_user_sgpr_flat_scratch_init 0
		.amdhsa_user_sgpr_kernarg_preload_length 0
		.amdhsa_user_sgpr_kernarg_preload_offset 0
		.amdhsa_user_sgpr_private_segment_size 0
		.amdhsa_uses_dynamic_stack 0
		.amdhsa_system_sgpr_private_segment_wavefront_offset 0
		.amdhsa_system_sgpr_workgroup_id_x 1
		.amdhsa_system_sgpr_workgroup_id_y 0
		.amdhsa_system_sgpr_workgroup_id_z 0
		.amdhsa_system_sgpr_workgroup_info 0
		.amdhsa_system_vgpr_workitem_id 0
		.amdhsa_next_free_vgpr 28
		.amdhsa_next_free_sgpr 52
		.amdhsa_accum_offset 28
		.amdhsa_reserve_vcc 1
		.amdhsa_reserve_flat_scratch 0
		.amdhsa_float_round_mode_32 0
		.amdhsa_float_round_mode_16_64 0
		.amdhsa_float_denorm_mode_32 3
		.amdhsa_float_denorm_mode_16_64 3
		.amdhsa_dx10_clamp 1
		.amdhsa_ieee_mode 1
		.amdhsa_fp16_overflow 0
		.amdhsa_tg_split 0
		.amdhsa_exception_fp_ieee_invalid_op 0
		.amdhsa_exception_fp_denorm_src 0
		.amdhsa_exception_fp_ieee_div_zero 0
		.amdhsa_exception_fp_ieee_overflow 0
		.amdhsa_exception_fp_ieee_underflow 0
		.amdhsa_exception_fp_ieee_inexact 0
		.amdhsa_exception_int_div_zero 0
	.end_amdhsa_kernel
	.section	.text._Z20fused_dropout_kernelIffjhEvPKT_PS0_PT2_T1_T0_St4pairImmE,"axG",@progbits,_Z20fused_dropout_kernelIffjhEvPKT_PS0_PT2_T1_T0_St4pairImmE,comdat
.Lfunc_end0:
	.size	_Z20fused_dropout_kernelIffjhEvPKT_PS0_PT2_T1_T0_St4pairImmE, .Lfunc_end0-_Z20fused_dropout_kernelIffjhEvPKT_PS0_PT2_T1_T0_St4pairImmE
                                        ; -- End function
	.section	.AMDGPU.csdata,"",@progbits
; Kernel info:
; codeLenInByte = 2140
; NumSgprs: 56
; NumVgprs: 28
; NumAgprs: 0
; TotalNumVgprs: 28
; ScratchSize: 0
; MemoryBound: 0
; FloatMode: 240
; IeeeMode: 1
; LDSByteSize: 0 bytes/workgroup (compile time only)
; SGPRBlocks: 6
; VGPRBlocks: 3
; NumSGPRsForWavesPerEU: 56
; NumVGPRsForWavesPerEU: 28
; AccumOffset: 28
; Occupancy: 8
; WaveLimiterHint : 0
; COMPUTE_PGM_RSRC2:SCRATCH_EN: 0
; COMPUTE_PGM_RSRC2:USER_SGPR: 6
; COMPUTE_PGM_RSRC2:TRAP_HANDLER: 0
; COMPUTE_PGM_RSRC2:TGID_X_EN: 1
; COMPUTE_PGM_RSRC2:TGID_Y_EN: 0
; COMPUTE_PGM_RSRC2:TGID_Z_EN: 0
; COMPUTE_PGM_RSRC2:TIDIG_COMP_CNT: 0
; COMPUTE_PGM_RSRC3_GFX90A:ACCUM_OFFSET: 6
; COMPUTE_PGM_RSRC3_GFX90A:TG_SPLIT: 0
	.section	.text._Z24fused_dropout_kernel_vecIffjhLi2EEvPKT_PS0_PT2_T1_T0_St4pairImmE,"axG",@progbits,_Z24fused_dropout_kernel_vecIffjhLi2EEvPKT_PS0_PT2_T1_T0_St4pairImmE,comdat
	.protected	_Z24fused_dropout_kernel_vecIffjhLi2EEvPKT_PS0_PT2_T1_T0_St4pairImmE ; -- Begin function _Z24fused_dropout_kernel_vecIffjhLi2EEvPKT_PS0_PT2_T1_T0_St4pairImmE
	.globl	_Z24fused_dropout_kernel_vecIffjhLi2EEvPKT_PS0_PT2_T1_T0_St4pairImmE
	.p2align	8
	.type	_Z24fused_dropout_kernel_vecIffjhLi2EEvPKT_PS0_PT2_T1_T0_St4pairImmE,@function
_Z24fused_dropout_kernel_vecIffjhLi2EEvPKT_PS0_PT2_T1_T0_St4pairImmE: ; @_Z24fused_dropout_kernel_vecIffjhLi2EEvPKT_PS0_PT2_T1_T0_St4pairImmE
; %bb.0:
	s_load_dword s7, s[4:5], 0x3c
	s_load_dwordx2 s[2:3], s[4:5], 0x18
	s_add_u32 s0, s4, 48
	s_addc_u32 s1, s5, 0
	s_waitcnt lgkmcnt(0)
	s_and_b32 s19, s7, 0xffff
	s_mul_i32 s6, s6, s19
	v_add_u32_e32 v18, s6, v0
	v_lshlrev_b32_e32 v12, 1, v18
	v_cmp_gt_u32_e32 vcc, s2, v12
	s_and_saveexec_b64 s[6:7], vcc
	s_cbranch_execz .LBB1_13
; %bb.1:
	s_load_dwordx4 s[8:11], s[4:5], 0x20
	s_load_dwordx4 s[12:15], s[4:5], 0x0
	s_load_dwordx2 s[6:7], s[4:5], 0x10
	v_div_scale_f32 v0, s[4:5], s3, s3, 1.0
	v_rcp_f32_e32 v1, v0
	s_load_dword s0, s[0:1], 0x0
	s_mov_b32 s27, 0xcd9e8d57
	s_waitcnt lgkmcnt(0)
	s_add_u32 s28, s8, 0x9e3779b9
	v_fma_f32 v2, -v0, v1, 1.0
	v_fmac_f32_e32 v1, v2, v1
	v_div_scale_f32 v2, vcc, 1.0, s3, 1.0
	v_mul_f32_e32 v3, v2, v1
	v_fma_f32 v4, -v0, v3, v2
	v_fmac_f32_e32 v3, v4, v1
	v_fma_f32 v0, -v0, v3, v2
	v_div_fmas_f32 v0, v0, v1, v3
	v_div_fixup_f32 v14, v0, s3, 1.0
	v_mov_b32_e32 v0, s10
	v_alignbit_b32 v8, s11, v0, 2
	s_mul_i32 s4, s0, s19
	v_readfirstlane_b32 s0, v8
	s_mul_hi_u32 s1, s0, 0xd2511f53
	s_xor_b64 s[0:1], s[0:1], s[8:9]
	s_mul_hi_u32 s0, s1, 0xcd9e8d57
	s_and_b32 s16, s10, 3
	s_mul_i32 s5, s1, 0xcd9e8d57
	s_xor_b32 s10, s0, s28
	v_mad_u64_u32 v[0:1], s[0:1], v18, s27, 0
	s_mov_b32 s26, 0xd2511f53
	v_xor_b32_e32 v0, s10, v0
	v_mad_u64_u32 v[2:3], s[0:1], v0, s26, 0
	s_lshr_b32 s11, s11, 2
	s_xor_b32 s0, s11, s8
	s_add_u32 s25, s9, 0x76cf5d0a
	v_xor_b32_e32 v0, s0, v1
	v_xor_b32_e32 v3, s25, v3
	v_mad_u64_u32 v[0:1], s[0:1], v0, s26, 0
	v_mul_lo_u32 v6, v8, s26
	v_xor_b32_e32 v0, v3, v0
	s_add_u32 s29, s9, 0xbb67ae85
	v_mad_u64_u32 v[4:5], s[0:1], v0, s27, 0
	v_xor_b32_e32 v0, s29, v6
	s_add_u32 s24, s8, 0xdaa66d2b
	v_xor_b32_e32 v0, v0, v1
	v_xor_b32_e32 v3, s24, v5
	v_mad_u64_u32 v[0:1], s[0:1], v0, s27, 0
	v_xor_b32_e32 v0, v3, v0
	v_mad_u64_u32 v[6:7], s[0:1], v0, s26, 0
	s_add_u32 s30, s8, 0x3c6ef372
	s_xor_b32 s0, s5, s30
	s_add_u32 s23, s9, 0xed9eba14
	v_xor_b32_e32 v0, s0, v1
	v_xor_b32_e32 v3, s23, v7
	v_mad_u64_u32 v[0:1], s[0:1], v0, s26, 0
	v_xor_b32_e32 v0, v3, v0
	s_add_u32 s31, s9, 0x32370b8f
	v_mad_u64_u32 v[10:11], s[0:1], v0, s27, 0
	v_xor_b32_e32 v0, s31, v1
	s_add_u32 s22, s8, 0x1715609d
	v_xor_b32_e32 v0, v0, v2
	v_xor_b32_e32 v3, s22, v11
	v_mad_u64_u32 v[0:1], s[0:1], v0, s27, 0
	v_xor_b32_e32 v0, v3, v0
	s_add_u32 s33, s8, 0x78dde6e4
	v_mad_u64_u32 v[2:3], s[0:1], v0, s26, 0
	v_xor_b32_e32 v0, s33, v1
	;; [unrolled: 8-line block ×5, first 2 shown]
	v_xor_b32_e32 v0, v0, v2
	v_mad_u64_u32 v[0:1], s[0:1], v0, s27, 0
	s_add_u32 s37, s8, 0xf1bbcdc8
	v_xor_b32_e32 v1, s37, v1
	v_xor_b32_e32 v1, v1, v4
	v_mad_u64_u32 v[4:5], s[0:1], v1, s26, 0
	s_add_i32 s17, s8, 0x8ff34781
	s_add_i32 s18, s9, 0x96a522ad
	v_xor_b32_e32 v0, v11, v0
	v_xor_b32_e32 v1, v5, v6
	;; [unrolled: 1-line block ×4, first 2 shown]
	v_mov_b32_e32 v1, v10
	v_mov_b32_e32 v3, v4
	s_lshl_b32 s38, s4, 1
	v_mov_b32_e32 v15, v14
	s_mov_b32 s39, s3
	s_mov_b64 s[4:5], 0
	v_mov_b32_e32 v19, 0
	v_mov_b32_e32 v13, 0
	s_mov_b32 s10, 0x2f800000
	s_branch .LBB1_4
.LBB1_2:                                ;   in Loop: Header=BB1_4 Depth=1
	v_pk_mov_b32 v[10:11], v[2:3], v[2:3] op_sel:[0,1]
	v_pk_mov_b32 v[8:9], v[0:1], v[0:1] op_sel:[0,1]
.LBB1_3:                                ;   in Loop: Header=BB1_4 Depth=1
	v_lshlrev_b64 v[0:1], 2, v[12:13]
	v_mov_b32_e32 v3, s13
	v_add_co_u32_e32 v2, vcc, s12, v0
	v_addc_co_u32_e32 v3, vcc, v3, v1, vcc
	global_load_dwordx2 v[2:3], v[2:3], off
	v_cvt_f32_u32_e32 v11, v9
	v_cvt_f32_u32_e32 v10, v8
	v_mov_b32_e32 v9, s15
	v_add_co_u32_e32 v0, vcc, s14, v0
	v_addc_co_u32_e32 v1, vcc, v9, v1, vcc
	v_pk_fma_f32 v[10:11], v[10:11], s[10:11], s[10:11] op_sel_hi:[1,0,0]
	v_cmp_gt_f32_e32 vcc, s3, v11
	v_cmp_gt_f32_e64 s[0:1], s39, v10
	v_cndmask_b32_e64 v9, 0, 1, vcc
	v_mov_b32_e32 v7, v16
	v_cndmask_b32_e64 v11, 0, 1.0, vcc
	v_cndmask_b32_e64 v10, 0, 1.0, s[0:1]
	v_cndmask_b32_e64 v16, 0, 1, s[0:1]
	v_lshlrev_b16_e32 v9, 8, v9
	v_or_b32_e32 v9, v16, v9
	global_store_short v12, v9, s[6:7]
	v_add_u32_e32 v12, s38, v12
	v_cmp_le_u32_e32 vcc, s2, v12
	v_mov_b32_e32 v8, s40
	s_or_b64 s[4:5], vcc, s[4:5]
	s_waitcnt vmcnt(1)
	v_pk_mul_f32 v[2:3], v[2:3], v[10:11]
	v_pk_mul_f32 v[2:3], v[14:15], v[2:3]
	global_store_dwordx2 v[0:1], v[2:3], off
	v_pk_mov_b32 v[0:1], v[4:5], v[4:5] op_sel:[0,1]
	v_pk_mov_b32 v[2:3], v[6:7], v[6:7] op_sel:[0,1]
	s_barrier
	s_andn2_b64 exec, exec, s[4:5]
	s_cbranch_execz .LBB1_13
.LBB1_4:                                ; =>This Inner Loop Header: Depth=1
	v_add_co_u32_e32 v4, vcc, 1, v8
	s_cmp_lg_u64 vcc, 0
	s_addc_u32 s11, s11, 0
	s_cmp_eq_u32 s11, 0
	v_cndmask_b32_e64 v5, 0, 1, vcc
	s_cselect_b64 vcc, -1, 0
	v_readfirstlane_b32 s40, v4
	v_cndmask_b32_e32 v4, 0, v5, vcc
	v_add_u32_e32 v18, v4, v18
	v_cmp_eq_u32_e32 vcc, 0, v18
	v_cndmask_b32_e32 v4, 0, v4, vcc
	v_add_u32_e32 v19, v4, v19
	s_mul_hi_u32 s1, s40, 0xd2511f53
	s_mul_i32 s0, s40, 0xd2511f53
	v_mad_u64_u32 v[4:5], s[42:43], v18, s27, 0
	s_xor_b64 s[42:43], s[0:1], s[8:9]
	s_xor_b32 s41, s11, s8
	v_xor_b32_e32 v8, s43, v19
	v_xor_b32_e32 v5, s41, v5
	v_mad_u64_u32 v[8:9], s[42:43], v8, s27, 0
	v_mad_u64_u32 v[6:7], s[42:43], v5, s26, 0
	v_xor_b32_e32 v5, s28, v9
	s_xor_b32 s0, s0, s29
	v_xor_b32_e32 v4, v5, v4
	v_xor_b32_e32 v7, s0, v7
	v_mad_u64_u32 v[4:5], s[0:1], v4, s26, 0
	v_mad_u64_u32 v[10:11], s[0:1], v7, s27, 0
	v_xor_b32_e32 v7, s30, v11
	v_xor_b32_e32 v5, s25, v5
	v_xor_b32_e32 v7, v7, v8
	v_xor_b32_e32 v5, v5, v6
	v_mad_u64_u32 v[6:7], s[0:1], v7, s26, 0
	v_mad_u64_u32 v[8:9], s[0:1], v5, s27, 0
	v_xor_b32_e32 v5, s24, v9
	v_xor_b32_e32 v7, s31, v7
	;; [unrolled: 6-line block ×8, first 2 shown]
	v_xor_b32_e32 v4, s17, v4
	v_xor_b32_e32 v6, s18, v5
	s_cmp_lt_i32 s16, 2
	v_mov_b32_e32 v5, v8
	s_cbranch_scc1 .LBB1_7
; %bb.5:                                ;   in Loop: Header=BB1_4 Depth=1
	s_cmp_gt_i32 s16, 2
	s_cbranch_scc0 .LBB1_8
; %bb.6:                                ;   in Loop: Header=BB1_4 Depth=1
	v_mov_b32_e32 v8, v3
	v_mov_b32_e32 v9, v4
	s_cbranch_execz .LBB1_9
	s_branch .LBB1_10
.LBB1_7:                                ;   in Loop: Header=BB1_4 Depth=1
                                        ; implicit-def: $vgpr8_vgpr9_vgpr10_vgpr11
	s_branch .LBB1_11
.LBB1_8:                                ;   in Loop: Header=BB1_4 Depth=1
                                        ; implicit-def: $vgpr8_vgpr9_vgpr10_vgpr11
.LBB1_9:                                ;   in Loop: Header=BB1_4 Depth=1
	v_mov_b32_e32 v8, v2
	v_mov_b32_e32 v9, v3
.LBB1_10:                               ;   in Loop: Header=BB1_4 Depth=1
	s_cbranch_execnz .LBB1_3
.LBB1_11:                               ;   in Loop: Header=BB1_4 Depth=1
	s_cmp_lg_u32 s16, 1
	s_cbranch_scc1 .LBB1_2
; %bb.12:                               ;   in Loop: Header=BB1_4 Depth=1
	v_mov_b32_e32 v0, v1
	v_mov_b32_e32 v1, v2
	s_branch .LBB1_2
.LBB1_13:
	s_endpgm
	.section	.rodata,"a",@progbits
	.p2align	6, 0x0
	.amdhsa_kernel _Z24fused_dropout_kernel_vecIffjhLi2EEvPKT_PS0_PT2_T1_T0_St4pairImmE
		.amdhsa_group_segment_fixed_size 0
		.amdhsa_private_segment_fixed_size 0
		.amdhsa_kernarg_size 304
		.amdhsa_user_sgpr_count 6
		.amdhsa_user_sgpr_private_segment_buffer 1
		.amdhsa_user_sgpr_dispatch_ptr 0
		.amdhsa_user_sgpr_queue_ptr 0
		.amdhsa_user_sgpr_kernarg_segment_ptr 1
		.amdhsa_user_sgpr_dispatch_id 0
		.amdhsa_user_sgpr_flat_scratch_init 0
		.amdhsa_user_sgpr_kernarg_preload_length 0
		.amdhsa_user_sgpr_kernarg_preload_offset 0
		.amdhsa_user_sgpr_private_segment_size 0
		.amdhsa_uses_dynamic_stack 0
		.amdhsa_system_sgpr_private_segment_wavefront_offset 0
		.amdhsa_system_sgpr_workgroup_id_x 1
		.amdhsa_system_sgpr_workgroup_id_y 0
		.amdhsa_system_sgpr_workgroup_id_z 0
		.amdhsa_system_sgpr_workgroup_info 0
		.amdhsa_system_vgpr_workitem_id 0
		.amdhsa_next_free_vgpr 20
		.amdhsa_next_free_sgpr 44
		.amdhsa_accum_offset 20
		.amdhsa_reserve_vcc 1
		.amdhsa_reserve_flat_scratch 0
		.amdhsa_float_round_mode_32 0
		.amdhsa_float_round_mode_16_64 0
		.amdhsa_float_denorm_mode_32 3
		.amdhsa_float_denorm_mode_16_64 3
		.amdhsa_dx10_clamp 1
		.amdhsa_ieee_mode 1
		.amdhsa_fp16_overflow 0
		.amdhsa_tg_split 0
		.amdhsa_exception_fp_ieee_invalid_op 0
		.amdhsa_exception_fp_denorm_src 0
		.amdhsa_exception_fp_ieee_div_zero 0
		.amdhsa_exception_fp_ieee_overflow 0
		.amdhsa_exception_fp_ieee_underflow 0
		.amdhsa_exception_fp_ieee_inexact 0
		.amdhsa_exception_int_div_zero 0
	.end_amdhsa_kernel
	.section	.text._Z24fused_dropout_kernel_vecIffjhLi2EEvPKT_PS0_PT2_T1_T0_St4pairImmE,"axG",@progbits,_Z24fused_dropout_kernel_vecIffjhLi2EEvPKT_PS0_PT2_T1_T0_St4pairImmE,comdat
.Lfunc_end1:
	.size	_Z24fused_dropout_kernel_vecIffjhLi2EEvPKT_PS0_PT2_T1_T0_St4pairImmE, .Lfunc_end1-_Z24fused_dropout_kernel_vecIffjhLi2EEvPKT_PS0_PT2_T1_T0_St4pairImmE
                                        ; -- End function
	.section	.AMDGPU.csdata,"",@progbits
; Kernel info:
; codeLenInByte = 1396
; NumSgprs: 48
; NumVgprs: 20
; NumAgprs: 0
; TotalNumVgprs: 20
; ScratchSize: 0
; MemoryBound: 0
; FloatMode: 240
; IeeeMode: 1
; LDSByteSize: 0 bytes/workgroup (compile time only)
; SGPRBlocks: 5
; VGPRBlocks: 2
; NumSGPRsForWavesPerEU: 48
; NumVGPRsForWavesPerEU: 20
; AccumOffset: 20
; Occupancy: 8
; WaveLimiterHint : 0
; COMPUTE_PGM_RSRC2:SCRATCH_EN: 0
; COMPUTE_PGM_RSRC2:USER_SGPR: 6
; COMPUTE_PGM_RSRC2:TRAP_HANDLER: 0
; COMPUTE_PGM_RSRC2:TGID_X_EN: 1
; COMPUTE_PGM_RSRC2:TGID_Y_EN: 0
; COMPUTE_PGM_RSRC2:TGID_Z_EN: 0
; COMPUTE_PGM_RSRC2:TIDIG_COMP_CNT: 0
; COMPUTE_PGM_RSRC3_GFX90A:ACCUM_OFFSET: 4
; COMPUTE_PGM_RSRC3_GFX90A:TG_SPLIT: 0
	.section	.text._Z24fused_dropout_kernel_vecIffjhLi4EEvPKT_PS0_PT2_T1_T0_St4pairImmE,"axG",@progbits,_Z24fused_dropout_kernel_vecIffjhLi4EEvPKT_PS0_PT2_T1_T0_St4pairImmE,comdat
	.protected	_Z24fused_dropout_kernel_vecIffjhLi4EEvPKT_PS0_PT2_T1_T0_St4pairImmE ; -- Begin function _Z24fused_dropout_kernel_vecIffjhLi4EEvPKT_PS0_PT2_T1_T0_St4pairImmE
	.globl	_Z24fused_dropout_kernel_vecIffjhLi4EEvPKT_PS0_PT2_T1_T0_St4pairImmE
	.p2align	8
	.type	_Z24fused_dropout_kernel_vecIffjhLi4EEvPKT_PS0_PT2_T1_T0_St4pairImmE,@function
_Z24fused_dropout_kernel_vecIffjhLi4EEvPKT_PS0_PT2_T1_T0_St4pairImmE: ; @_Z24fused_dropout_kernel_vecIffjhLi4EEvPKT_PS0_PT2_T1_T0_St4pairImmE
; %bb.0:
	s_load_dword s2, s[4:5], 0x3c
	s_load_dwordx2 s[16:17], s[4:5], 0x18
	s_add_u32 s0, s4, 48
	s_addc_u32 s1, s5, 0
	s_waitcnt lgkmcnt(0)
	s_and_b32 s2, s2, 0xffff
	s_mul_i32 s6, s6, s2
	v_add_u32_e32 v20, s6, v0
	v_lshlrev_b32_e32 v14, 2, v20
	v_cmp_gt_u32_e32 vcc, s16, v14
	s_and_saveexec_b64 s[6:7], vcc
	s_cbranch_execz .LBB2_13
; %bb.1:
	s_load_dwordx4 s[8:11], s[4:5], 0x20
	s_load_dwordx4 s[12:15], s[4:5], 0x0
	s_load_dwordx2 s[6:7], s[4:5], 0x10
	v_div_scale_f32 v0, s[4:5], s17, s17, 1.0
	v_rcp_f32_e32 v1, v0
	s_load_dword s0, s[0:1], 0x0
	s_mov_b32 s30, 0xcd9e8d57
	s_waitcnt lgkmcnt(0)
	s_add_u32 s31, s8, 0x9e3779b9
	v_fma_f32 v2, -v0, v1, 1.0
	v_fmac_f32_e32 v1, v2, v1
	v_div_scale_f32 v2, vcc, 1.0, s17, 1.0
	v_mul_f32_e32 v3, v2, v1
	v_fma_f32 v4, -v0, v3, v2
	v_fmac_f32_e32 v3, v4, v1
	v_fma_f32 v0, -v0, v3, v2
	v_div_fmas_f32 v0, v0, v1, v3
	v_div_fixup_f32 v16, v0, s17, 1.0
	v_mov_b32_e32 v0, s10
	v_alignbit_b32 v8, s11, v0, 2
	s_mul_i32 s2, s0, s2
	v_readfirstlane_b32 s0, v8
	s_mul_hi_u32 s1, s0, 0xd2511f53
	s_xor_b64 s[0:1], s[0:1], s[8:9]
	s_mul_hi_u32 s0, s1, 0xcd9e8d57
	s_mul_i32 s3, s1, 0xcd9e8d57
	s_xor_b32 s4, s0, s31
	v_mad_u64_u32 v[0:1], s[0:1], v20, s30, 0
	s_mov_b32 s29, 0xd2511f53
	v_xor_b32_e32 v0, s4, v0
	v_mad_u64_u32 v[2:3], s[0:1], v0, s29, 0
	s_lshr_b32 s33, s11, 2
	s_xor_b32 s0, s33, s8
	s_add_u32 s28, s9, 0x76cf5d0a
	v_xor_b32_e32 v0, s0, v1
	v_xor_b32_e32 v3, s28, v3
	v_mad_u64_u32 v[0:1], s[0:1], v0, s29, 0
	v_mul_lo_u32 v6, v8, s29
	v_xor_b32_e32 v0, v3, v0
	s_add_u32 s34, s9, 0xbb67ae85
	v_mad_u64_u32 v[4:5], s[0:1], v0, s30, 0
	v_xor_b32_e32 v0, s34, v6
	s_add_u32 s27, s8, 0xdaa66d2b
	v_xor_b32_e32 v0, v0, v1
	v_xor_b32_e32 v3, s27, v5
	v_mad_u64_u32 v[0:1], s[0:1], v0, s30, 0
	v_xor_b32_e32 v0, v3, v0
	v_mad_u64_u32 v[6:7], s[0:1], v0, s29, 0
	s_add_u32 s35, s8, 0x3c6ef372
	s_xor_b32 s0, s3, s35
	s_add_u32 s26, s9, 0xed9eba14
	v_xor_b32_e32 v0, s0, v1
	v_xor_b32_e32 v3, s26, v7
	v_mad_u64_u32 v[0:1], s[0:1], v0, s29, 0
	v_xor_b32_e32 v0, v3, v0
	s_add_u32 s36, s9, 0x32370b8f
	v_mad_u64_u32 v[10:11], s[0:1], v0, s30, 0
	v_xor_b32_e32 v0, s36, v1
	s_add_u32 s25, s8, 0x1715609d
	v_xor_b32_e32 v0, v0, v2
	v_xor_b32_e32 v3, s25, v11
	v_mad_u64_u32 v[0:1], s[0:1], v0, s30, 0
	v_xor_b32_e32 v0, v3, v0
	s_add_u32 s37, s8, 0x78dde6e4
	v_mad_u64_u32 v[2:3], s[0:1], v0, s29, 0
	v_xor_b32_e32 v0, s37, v1
	;; [unrolled: 8-line block ×5, first 2 shown]
	v_xor_b32_e32 v0, v0, v2
	v_mad_u64_u32 v[0:1], s[0:1], v0, s30, 0
	s_add_u32 s41, s8, 0xf1bbcdc8
	v_xor_b32_e32 v1, s41, v1
	v_xor_b32_e32 v1, v1, v4
	v_mad_u64_u32 v[4:5], s[0:1], v1, s29, 0
	s_add_i32 s20, s8, 0x8ff34781
	s_add_i32 s21, s9, 0x96a522ad
	v_xor_b32_e32 v0, v11, v0
	v_xor_b32_e32 v1, v5, v6
	s_and_b32 s19, s10, 3
	v_xor_b32_e32 v0, s20, v0
	v_xor_b32_e32 v2, s21, v1
	v_mov_b32_e32 v1, v10
	v_mov_b32_e32 v3, v4
	s_lshl_b32 s42, s2, 2
	v_mov_b32_e32 v17, v16
	s_mov_b32 s43, s17
	s_mov_b64 s[10:11], 0
	v_mov_b32_e32 v21, 0
	v_mov_b32_e32 v15, 0
	s_mov_b32 s18, 0x2f800000
	s_branch .LBB2_4
.LBB2_2:                                ;   in Loop: Header=BB2_4 Depth=1
	v_pk_mov_b32 v[10:11], v[2:3], v[2:3] op_sel:[0,1]
	v_pk_mov_b32 v[8:9], v[0:1], v[0:1] op_sel:[0,1]
.LBB2_3:                                ;   in Loop: Header=BB2_4 Depth=1
	v_lshlrev_b64 v[12:13], 2, v[14:15]
	v_mov_b32_e32 v1, s13
	v_add_co_u32_e32 v0, vcc, s12, v12
	v_addc_co_u32_e32 v1, vcc, v1, v13, vcc
	global_load_dwordx4 v[0:3], v[0:1], off
	v_mov_b32_e32 v7, v18
	v_cvt_f32_u32_e32 v19, v9
	v_cvt_f32_u32_e32 v18, v8
	;; [unrolled: 1-line block ×4, first 2 shown]
	v_mov_b32_e32 v22, s15
	v_add_co_u32_e32 v12, vcc, s14, v12
	v_addc_co_u32_e32 v13, vcc, v22, v13, vcc
	v_pk_fma_f32 v[18:19], v[18:19], s[18:19], s[18:19] op_sel_hi:[1,0,0]
	v_pk_fma_f32 v[10:11], v[10:11], s[18:19], s[18:19] op_sel_hi:[1,0,0]
	v_mov_b32_e32 v8, s2
	v_cmp_gt_f32_e32 vcc, s17, v19
	v_cmp_gt_f32_e64 s[2:3], s17, v11
	v_cmp_gt_f32_e64 s[0:1], s43, v18
	;; [unrolled: 1-line block ×3, first 2 shown]
	v_cndmask_b32_e64 v22, 0, 1, vcc
	v_cndmask_b32_e64 v24, 0, 1, s[2:3]
	v_cndmask_b32_e64 v9, 0, 1, s[0:1]
	;; [unrolled: 1-line block ×3, first 2 shown]
	v_lshlrev_b16_e32 v22, 8, v22
	v_lshlrev_b16_e32 v24, 8, v24
	v_cndmask_b32_e64 v19, 0, 1.0, vcc
	v_cndmask_b32_e64 v18, 0, 1.0, s[0:1]
	v_cndmask_b32_e64 v11, 0, 1.0, s[2:3]
	;; [unrolled: 1-line block ×3, first 2 shown]
	v_or_b32_e32 v9, v9, v22
	v_or_b32_sdwa v22, v23, v24 dst_sel:WORD_1 dst_unused:UNUSED_PAD src0_sel:DWORD src1_sel:DWORD
	v_or_b32_sdwa v9, v9, v22 dst_sel:DWORD dst_unused:UNUSED_PAD src0_sel:WORD_0 src1_sel:DWORD
	global_store_dword v14, v9, s[6:7]
	v_add_u32_e32 v14, s42, v14
	v_cmp_le_u32_e32 vcc, s16, v14
	s_or_b64 s[10:11], vcc, s[10:11]
	s_waitcnt vmcnt(1)
	v_pk_mul_f32 v[0:1], v[0:1], v[18:19]
	v_pk_mul_f32 v[2:3], v[2:3], v[10:11]
	;; [unrolled: 1-line block ×4, first 2 shown]
	global_store_dwordx4 v[12:13], v[0:3], off
	s_nop 0
	v_pk_mov_b32 v[0:1], v[4:5], v[4:5] op_sel:[0,1]
	v_pk_mov_b32 v[2:3], v[6:7], v[6:7] op_sel:[0,1]
	s_barrier
	s_andn2_b64 exec, exec, s[10:11]
	s_cbranch_execz .LBB2_13
.LBB2_4:                                ; =>This Inner Loop Header: Depth=1
	v_add_co_u32_e32 v4, vcc, 1, v8
	s_cmp_lg_u64 vcc, 0
	s_addc_u32 s33, s33, 0
	s_cmp_eq_u32 s33, 0
	v_cndmask_b32_e64 v5, 0, 1, vcc
	s_cselect_b64 vcc, -1, 0
	v_readfirstlane_b32 s2, v4
	v_cndmask_b32_e32 v4, 0, v5, vcc
	v_add_u32_e32 v20, v4, v20
	v_cmp_eq_u32_e32 vcc, 0, v20
	v_cndmask_b32_e32 v4, 0, v4, vcc
	v_add_u32_e32 v21, v4, v21
	s_mul_hi_u32 s1, s2, 0xd2511f53
	s_mul_i32 s0, s2, 0xd2511f53
	v_mad_u64_u32 v[4:5], s[4:5], v20, s30, 0
	s_xor_b64 s[4:5], s[0:1], s[8:9]
	s_xor_b32 s3, s33, s8
	v_xor_b32_e32 v8, s5, v21
	v_xor_b32_e32 v5, s3, v5
	v_mad_u64_u32 v[8:9], s[4:5], v8, s30, 0
	v_mad_u64_u32 v[6:7], s[4:5], v5, s29, 0
	v_xor_b32_e32 v5, s31, v9
	s_xor_b32 s0, s0, s34
	v_xor_b32_e32 v4, v5, v4
	v_xor_b32_e32 v7, s0, v7
	v_mad_u64_u32 v[4:5], s[0:1], v4, s29, 0
	v_mad_u64_u32 v[10:11], s[0:1], v7, s30, 0
	v_xor_b32_e32 v7, s35, v11
	v_xor_b32_e32 v5, s28, v5
	v_xor_b32_e32 v7, v7, v8
	v_xor_b32_e32 v5, v5, v6
	v_mad_u64_u32 v[6:7], s[0:1], v7, s29, 0
	v_mad_u64_u32 v[8:9], s[0:1], v5, s30, 0
	v_xor_b32_e32 v5, s27, v9
	v_xor_b32_e32 v7, s36, v7
	v_xor_b32_e32 v5, v5, v10
	v_xor_b32_e32 v7, v7, v4
	v_mad_u64_u32 v[4:5], s[0:1], v5, s29, 0
	v_mad_u64_u32 v[10:11], s[0:1], v7, s30, 0
	v_xor_b32_e32 v7, s37, v11
	v_xor_b32_e32 v5, s26, v5
	v_xor_b32_e32 v7, v7, v8
	v_xor_b32_e32 v5, v5, v6
	v_mad_u64_u32 v[6:7], s[0:1], v7, s29, 0
	v_mad_u64_u32 v[8:9], s[0:1], v5, s30, 0
	v_xor_b32_e32 v5, s25, v9
	v_xor_b32_e32 v7, s38, v7
	v_xor_b32_e32 v5, v5, v10
	v_xor_b32_e32 v7, v7, v4
	v_mad_u64_u32 v[4:5], s[0:1], v5, s29, 0
	v_mad_u64_u32 v[10:11], s[0:1], v7, s30, 0
	v_xor_b32_e32 v7, s39, v11
	v_xor_b32_e32 v5, s24, v5
	v_xor_b32_e32 v7, v7, v8
	v_xor_b32_e32 v5, v5, v6
	v_mad_u64_u32 v[6:7], s[0:1], v7, s29, 0
	v_mad_u64_u32 v[8:9], s[0:1], v5, s30, 0
	v_xor_b32_e32 v5, s23, v9
	v_xor_b32_e32 v7, s40, v7
	v_xor_b32_e32 v5, v5, v10
	v_xor_b32_e32 v4, v7, v4
	v_mad_u64_u32 v[10:11], s[0:1], v5, s29, 0
	v_mad_u64_u32 v[4:5], s[0:1], v4, s30, 0
	v_xor_b32_e32 v5, s41, v5
	v_xor_b32_e32 v5, v5, v8
	v_xor_b32_e32 v7, s22, v11
	v_xor_b32_e32 v6, v7, v6
	v_mad_u64_u32 v[18:19], s[0:1], v5, s29, 0
	v_mad_u64_u32 v[12:13], s[0:1], v6, s30, 0
	v_xor_b32_e32 v5, v19, v10
	v_xor_b32_e32 v4, v13, v4
	v_xor_b32_e32 v13, s21, v5
	v_xor_b32_e32 v4, s20, v4
	v_mov_b32_e32 v5, v12
	s_cmp_lt_i32 s19, 2
	v_mov_b32_e32 v6, v13
	s_cbranch_scc1 .LBB2_7
; %bb.5:                                ;   in Loop: Header=BB2_4 Depth=1
	s_cmp_gt_i32 s19, 2
	s_cbranch_scc0 .LBB2_8
; %bb.6:                                ;   in Loop: Header=BB2_4 Depth=1
	v_mov_b32_e32 v10, v3
	v_mov_b32_e32 v11, v4
	v_pk_mov_b32 v[8:9], v[10:11], v[10:11] op_sel:[0,1]
	v_pk_mov_b32 v[10:11], v[12:13], v[12:13] op_sel:[0,1]
	s_cbranch_execz .LBB2_9
	s_branch .LBB2_10
.LBB2_7:                                ;   in Loop: Header=BB2_4 Depth=1
                                        ; implicit-def: $vgpr8_vgpr9_vgpr10_vgpr11
	s_branch .LBB2_11
.LBB2_8:                                ;   in Loop: Header=BB2_4 Depth=1
                                        ; implicit-def: $vgpr8_vgpr9_vgpr10_vgpr11
.LBB2_9:                                ;   in Loop: Header=BB2_4 Depth=1
	v_mov_b32_e32 v8, v2
	v_mov_b32_e32 v9, v3
	;; [unrolled: 1-line block ×4, first 2 shown]
.LBB2_10:                               ;   in Loop: Header=BB2_4 Depth=1
	s_cbranch_execnz .LBB2_3
.LBB2_11:                               ;   in Loop: Header=BB2_4 Depth=1
	s_cmp_lg_u32 s19, 1
	s_cbranch_scc1 .LBB2_2
; %bb.12:                               ;   in Loop: Header=BB2_4 Depth=1
	v_mov_b32_e32 v0, v1
	v_mov_b32_e32 v1, v2
	;; [unrolled: 1-line block ×4, first 2 shown]
	s_branch .LBB2_2
.LBB2_13:
	s_endpgm
	.section	.rodata,"a",@progbits
	.p2align	6, 0x0
	.amdhsa_kernel _Z24fused_dropout_kernel_vecIffjhLi4EEvPKT_PS0_PT2_T1_T0_St4pairImmE
		.amdhsa_group_segment_fixed_size 0
		.amdhsa_private_segment_fixed_size 0
		.amdhsa_kernarg_size 304
		.amdhsa_user_sgpr_count 6
		.amdhsa_user_sgpr_private_segment_buffer 1
		.amdhsa_user_sgpr_dispatch_ptr 0
		.amdhsa_user_sgpr_queue_ptr 0
		.amdhsa_user_sgpr_kernarg_segment_ptr 1
		.amdhsa_user_sgpr_dispatch_id 0
		.amdhsa_user_sgpr_flat_scratch_init 0
		.amdhsa_user_sgpr_kernarg_preload_length 0
		.amdhsa_user_sgpr_kernarg_preload_offset 0
		.amdhsa_user_sgpr_private_segment_size 0
		.amdhsa_uses_dynamic_stack 0
		.amdhsa_system_sgpr_private_segment_wavefront_offset 0
		.amdhsa_system_sgpr_workgroup_id_x 1
		.amdhsa_system_sgpr_workgroup_id_y 0
		.amdhsa_system_sgpr_workgroup_id_z 0
		.amdhsa_system_sgpr_workgroup_info 0
		.amdhsa_system_vgpr_workitem_id 0
		.amdhsa_next_free_vgpr 25
		.amdhsa_next_free_sgpr 44
		.amdhsa_accum_offset 28
		.amdhsa_reserve_vcc 1
		.amdhsa_reserve_flat_scratch 0
		.amdhsa_float_round_mode_32 0
		.amdhsa_float_round_mode_16_64 0
		.amdhsa_float_denorm_mode_32 3
		.amdhsa_float_denorm_mode_16_64 3
		.amdhsa_dx10_clamp 1
		.amdhsa_ieee_mode 1
		.amdhsa_fp16_overflow 0
		.amdhsa_tg_split 0
		.amdhsa_exception_fp_ieee_invalid_op 0
		.amdhsa_exception_fp_denorm_src 0
		.amdhsa_exception_fp_ieee_div_zero 0
		.amdhsa_exception_fp_ieee_overflow 0
		.amdhsa_exception_fp_ieee_underflow 0
		.amdhsa_exception_fp_ieee_inexact 0
		.amdhsa_exception_int_div_zero 0
	.end_amdhsa_kernel
	.section	.text._Z24fused_dropout_kernel_vecIffjhLi4EEvPKT_PS0_PT2_T1_T0_St4pairImmE,"axG",@progbits,_Z24fused_dropout_kernel_vecIffjhLi4EEvPKT_PS0_PT2_T1_T0_St4pairImmE,comdat
.Lfunc_end2:
	.size	_Z24fused_dropout_kernel_vecIffjhLi4EEvPKT_PS0_PT2_T1_T0_St4pairImmE, .Lfunc_end2-_Z24fused_dropout_kernel_vecIffjhLi4EEvPKT_PS0_PT2_T1_T0_St4pairImmE
                                        ; -- End function
	.section	.AMDGPU.csdata,"",@progbits
; Kernel info:
; codeLenInByte = 1536
; NumSgprs: 48
; NumVgprs: 25
; NumAgprs: 0
; TotalNumVgprs: 25
; ScratchSize: 0
; MemoryBound: 0
; FloatMode: 240
; IeeeMode: 1
; LDSByteSize: 0 bytes/workgroup (compile time only)
; SGPRBlocks: 5
; VGPRBlocks: 3
; NumSGPRsForWavesPerEU: 48
; NumVGPRsForWavesPerEU: 25
; AccumOffset: 28
; Occupancy: 8
; WaveLimiterHint : 0
; COMPUTE_PGM_RSRC2:SCRATCH_EN: 0
; COMPUTE_PGM_RSRC2:USER_SGPR: 6
; COMPUTE_PGM_RSRC2:TRAP_HANDLER: 0
; COMPUTE_PGM_RSRC2:TGID_X_EN: 1
; COMPUTE_PGM_RSRC2:TGID_Y_EN: 0
; COMPUTE_PGM_RSRC2:TGID_Z_EN: 0
; COMPUTE_PGM_RSRC2:TIDIG_COMP_CNT: 0
; COMPUTE_PGM_RSRC3_GFX90A:ACCUM_OFFSET: 6
; COMPUTE_PGM_RSRC3_GFX90A:TG_SPLIT: 0
	.text
	.p2alignl 6, 3212836864
	.fill 256, 4, 3212836864
	.type	__hip_cuid_5845607598468121,@object ; @__hip_cuid_5845607598468121
	.section	.bss,"aw",@nobits
	.globl	__hip_cuid_5845607598468121
__hip_cuid_5845607598468121:
	.byte	0                               ; 0x0
	.size	__hip_cuid_5845607598468121, 1

	.ident	"AMD clang version 19.0.0git (https://github.com/RadeonOpenCompute/llvm-project roc-6.4.0 25133 c7fe45cf4b819c5991fe208aaa96edf142730f1d)"
	.section	".note.GNU-stack","",@progbits
	.addrsig
	.addrsig_sym __hip_cuid_5845607598468121
	.amdgpu_metadata
---
amdhsa.kernels:
  - .agpr_count:     0
    .args:
      - .actual_access:  read_only
        .address_space:  global
        .offset:         0
        .size:           8
        .value_kind:     global_buffer
      - .actual_access:  write_only
        .address_space:  global
        .offset:         8
        .size:           8
        .value_kind:     global_buffer
      - .actual_access:  write_only
        .address_space:  global
        .offset:         16
        .size:           8
        .value_kind:     global_buffer
      - .offset:         24
        .size:           4
        .value_kind:     by_value
      - .offset:         28
        .size:           4
        .value_kind:     by_value
      - .offset:         32
        .size:           16
        .value_kind:     by_value
      - .offset:         48
        .size:           4
        .value_kind:     hidden_block_count_x
      - .offset:         52
        .size:           4
        .value_kind:     hidden_block_count_y
      - .offset:         56
        .size:           4
        .value_kind:     hidden_block_count_z
      - .offset:         60
        .size:           2
        .value_kind:     hidden_group_size_x
      - .offset:         62
        .size:           2
        .value_kind:     hidden_group_size_y
      - .offset:         64
        .size:           2
        .value_kind:     hidden_group_size_z
      - .offset:         66
        .size:           2
        .value_kind:     hidden_remainder_x
      - .offset:         68
        .size:           2
        .value_kind:     hidden_remainder_y
      - .offset:         70
        .size:           2
        .value_kind:     hidden_remainder_z
      - .offset:         88
        .size:           8
        .value_kind:     hidden_global_offset_x
      - .offset:         96
        .size:           8
        .value_kind:     hidden_global_offset_y
      - .offset:         104
        .size:           8
        .value_kind:     hidden_global_offset_z
      - .offset:         112
        .size:           2
        .value_kind:     hidden_grid_dims
    .group_segment_fixed_size: 0
    .kernarg_segment_align: 8
    .kernarg_segment_size: 304
    .language:       OpenCL C
    .language_version:
      - 2
      - 0
    .max_flat_workgroup_size: 1024
    .name:           _Z20fused_dropout_kernelIffjhEvPKT_PS0_PT2_T1_T0_St4pairImmE
    .private_segment_fixed_size: 0
    .sgpr_count:     56
    .sgpr_spill_count: 0
    .symbol:         _Z20fused_dropout_kernelIffjhEvPKT_PS0_PT2_T1_T0_St4pairImmE.kd
    .uniform_work_group_size: 1
    .uses_dynamic_stack: false
    .vgpr_count:     28
    .vgpr_spill_count: 0
    .wavefront_size: 64
  - .agpr_count:     0
    .args:
      - .actual_access:  read_only
        .address_space:  global
        .offset:         0
        .size:           8
        .value_kind:     global_buffer
      - .actual_access:  write_only
        .address_space:  global
        .offset:         8
        .size:           8
        .value_kind:     global_buffer
      - .actual_access:  write_only
        .address_space:  global
        .offset:         16
        .size:           8
        .value_kind:     global_buffer
      - .offset:         24
        .size:           4
        .value_kind:     by_value
      - .offset:         28
        .size:           4
        .value_kind:     by_value
      - .offset:         32
        .size:           16
        .value_kind:     by_value
      - .offset:         48
        .size:           4
        .value_kind:     hidden_block_count_x
      - .offset:         52
        .size:           4
        .value_kind:     hidden_block_count_y
      - .offset:         56
        .size:           4
        .value_kind:     hidden_block_count_z
      - .offset:         60
        .size:           2
        .value_kind:     hidden_group_size_x
      - .offset:         62
        .size:           2
        .value_kind:     hidden_group_size_y
      - .offset:         64
        .size:           2
        .value_kind:     hidden_group_size_z
      - .offset:         66
        .size:           2
        .value_kind:     hidden_remainder_x
      - .offset:         68
        .size:           2
        .value_kind:     hidden_remainder_y
      - .offset:         70
        .size:           2
        .value_kind:     hidden_remainder_z
      - .offset:         88
        .size:           8
        .value_kind:     hidden_global_offset_x
      - .offset:         96
        .size:           8
        .value_kind:     hidden_global_offset_y
      - .offset:         104
        .size:           8
        .value_kind:     hidden_global_offset_z
      - .offset:         112
        .size:           2
        .value_kind:     hidden_grid_dims
    .group_segment_fixed_size: 0
    .kernarg_segment_align: 8
    .kernarg_segment_size: 304
    .language:       OpenCL C
    .language_version:
      - 2
      - 0
    .max_flat_workgroup_size: 1024
    .name:           _Z24fused_dropout_kernel_vecIffjhLi2EEvPKT_PS0_PT2_T1_T0_St4pairImmE
    .private_segment_fixed_size: 0
    .sgpr_count:     48
    .sgpr_spill_count: 0
    .symbol:         _Z24fused_dropout_kernel_vecIffjhLi2EEvPKT_PS0_PT2_T1_T0_St4pairImmE.kd
    .uniform_work_group_size: 1
    .uses_dynamic_stack: false
    .vgpr_count:     20
    .vgpr_spill_count: 0
    .wavefront_size: 64
  - .agpr_count:     0
    .args:
      - .actual_access:  read_only
        .address_space:  global
        .offset:         0
        .size:           8
        .value_kind:     global_buffer
      - .actual_access:  write_only
        .address_space:  global
        .offset:         8
        .size:           8
        .value_kind:     global_buffer
      - .actual_access:  write_only
        .address_space:  global
        .offset:         16
        .size:           8
        .value_kind:     global_buffer
      - .offset:         24
        .size:           4
        .value_kind:     by_value
      - .offset:         28
        .size:           4
        .value_kind:     by_value
      - .offset:         32
        .size:           16
        .value_kind:     by_value
      - .offset:         48
        .size:           4
        .value_kind:     hidden_block_count_x
      - .offset:         52
        .size:           4
        .value_kind:     hidden_block_count_y
      - .offset:         56
        .size:           4
        .value_kind:     hidden_block_count_z
      - .offset:         60
        .size:           2
        .value_kind:     hidden_group_size_x
      - .offset:         62
        .size:           2
        .value_kind:     hidden_group_size_y
      - .offset:         64
        .size:           2
        .value_kind:     hidden_group_size_z
      - .offset:         66
        .size:           2
        .value_kind:     hidden_remainder_x
      - .offset:         68
        .size:           2
        .value_kind:     hidden_remainder_y
      - .offset:         70
        .size:           2
        .value_kind:     hidden_remainder_z
      - .offset:         88
        .size:           8
        .value_kind:     hidden_global_offset_x
      - .offset:         96
        .size:           8
        .value_kind:     hidden_global_offset_y
      - .offset:         104
        .size:           8
        .value_kind:     hidden_global_offset_z
      - .offset:         112
        .size:           2
        .value_kind:     hidden_grid_dims
    .group_segment_fixed_size: 0
    .kernarg_segment_align: 8
    .kernarg_segment_size: 304
    .language:       OpenCL C
    .language_version:
      - 2
      - 0
    .max_flat_workgroup_size: 1024
    .name:           _Z24fused_dropout_kernel_vecIffjhLi4EEvPKT_PS0_PT2_T1_T0_St4pairImmE
    .private_segment_fixed_size: 0
    .sgpr_count:     48
    .sgpr_spill_count: 0
    .symbol:         _Z24fused_dropout_kernel_vecIffjhLi4EEvPKT_PS0_PT2_T1_T0_St4pairImmE.kd
    .uniform_work_group_size: 1
    .uses_dynamic_stack: false
    .vgpr_count:     25
    .vgpr_spill_count: 0
    .wavefront_size: 64
amdhsa.target:   amdgcn-amd-amdhsa--gfx90a
amdhsa.version:
  - 1
  - 2
...

	.end_amdgpu_metadata
